;; amdgpu-corpus repo=ROCm/rocFFT kind=compiled arch=gfx1100 opt=O3
	.text
	.amdgcn_target "amdgcn-amd-amdhsa--gfx1100"
	.amdhsa_code_object_version 6
	.protected	fft_rtc_fwd_len2500_factors_10_5_10_5_wgs_250_tpt_250_halfLds_half_op_CI_CI_unitstride_sbrr_R2C_dirReg ; -- Begin function fft_rtc_fwd_len2500_factors_10_5_10_5_wgs_250_tpt_250_halfLds_half_op_CI_CI_unitstride_sbrr_R2C_dirReg
	.globl	fft_rtc_fwd_len2500_factors_10_5_10_5_wgs_250_tpt_250_halfLds_half_op_CI_CI_unitstride_sbrr_R2C_dirReg
	.p2align	8
	.type	fft_rtc_fwd_len2500_factors_10_5_10_5_wgs_250_tpt_250_halfLds_half_op_CI_CI_unitstride_sbrr_R2C_dirReg,@function
fft_rtc_fwd_len2500_factors_10_5_10_5_wgs_250_tpt_250_halfLds_half_op_CI_CI_unitstride_sbrr_R2C_dirReg: ; @fft_rtc_fwd_len2500_factors_10_5_10_5_wgs_250_tpt_250_halfLds_half_op_CI_CI_unitstride_sbrr_R2C_dirReg
; %bb.0:
	s_clause 0x2
	s_load_b128 s[8:11], s[0:1], 0x0
	s_load_b128 s[4:7], s[0:1], 0x58
	;; [unrolled: 1-line block ×3, first 2 shown]
	v_mul_u32_u24_e32 v1, 0x107, v0
	v_mov_b32_e32 v8, 0
	v_mov_b32_e32 v9, 0
	s_delay_alu instid0(VALU_DEP_3) | instskip(NEXT) | instid1(VALU_DEP_1)
	v_lshrrev_b32_e32 v1, 16, v1
	v_dual_mov_b32 v5, 0 :: v_dual_add_nc_u32 v10, s15, v1
	s_delay_alu instid0(VALU_DEP_1) | instskip(SKIP_2) | instid1(VALU_DEP_1)
	v_mov_b32_e32 v11, v5
	s_waitcnt lgkmcnt(0)
	v_cmp_lt_u64_e64 s2, s[10:11], 2
	s_and_b32 vcc_lo, exec_lo, s2
	s_cbranch_vccnz .LBB0_8
; %bb.1:
	s_load_b64 s[2:3], s[0:1], 0x10
	v_mov_b32_e32 v8, 0
	v_mov_b32_e32 v9, 0
	s_add_u32 s12, s18, 8
	s_addc_u32 s13, s19, 0
	s_add_u32 s14, s16, 8
	s_delay_alu instid0(VALU_DEP_1)
	v_dual_mov_b32 v1, v8 :: v_dual_mov_b32 v2, v9
	s_addc_u32 s15, s17, 0
	s_mov_b64 s[22:23], 1
	s_waitcnt lgkmcnt(0)
	s_add_u32 s20, s2, 8
	s_addc_u32 s21, s3, 0
.LBB0_2:                                ; =>This Inner Loop Header: Depth=1
	s_load_b64 s[24:25], s[20:21], 0x0
                                        ; implicit-def: $vgpr3_vgpr4
	s_mov_b32 s2, exec_lo
	s_waitcnt lgkmcnt(0)
	v_or_b32_e32 v6, s25, v11
	s_delay_alu instid0(VALU_DEP_1)
	v_cmpx_ne_u64_e32 0, v[5:6]
	s_xor_b32 s3, exec_lo, s2
	s_cbranch_execz .LBB0_4
; %bb.3:                                ;   in Loop: Header=BB0_2 Depth=1
	v_cvt_f32_u32_e32 v3, s24
	v_cvt_f32_u32_e32 v4, s25
	s_sub_u32 s2, 0, s24
	s_subb_u32 s26, 0, s25
	s_delay_alu instid0(VALU_DEP_1) | instskip(NEXT) | instid1(VALU_DEP_1)
	v_fmac_f32_e32 v3, 0x4f800000, v4
	v_rcp_f32_e32 v3, v3
	s_waitcnt_depctr 0xfff
	v_mul_f32_e32 v3, 0x5f7ffffc, v3
	s_delay_alu instid0(VALU_DEP_1) | instskip(NEXT) | instid1(VALU_DEP_1)
	v_mul_f32_e32 v4, 0x2f800000, v3
	v_trunc_f32_e32 v4, v4
	s_delay_alu instid0(VALU_DEP_1) | instskip(SKIP_1) | instid1(VALU_DEP_2)
	v_fmac_f32_e32 v3, 0xcf800000, v4
	v_cvt_u32_f32_e32 v4, v4
	v_cvt_u32_f32_e32 v3, v3
	s_delay_alu instid0(VALU_DEP_2) | instskip(NEXT) | instid1(VALU_DEP_2)
	v_mul_lo_u32 v6, s2, v4
	v_mul_hi_u32 v7, s2, v3
	v_mul_lo_u32 v12, s26, v3
	s_delay_alu instid0(VALU_DEP_2) | instskip(SKIP_1) | instid1(VALU_DEP_2)
	v_add_nc_u32_e32 v6, v7, v6
	v_mul_lo_u32 v7, s2, v3
	v_add_nc_u32_e32 v6, v6, v12
	s_delay_alu instid0(VALU_DEP_2) | instskip(NEXT) | instid1(VALU_DEP_2)
	v_mul_hi_u32 v12, v3, v7
	v_mul_lo_u32 v13, v3, v6
	v_mul_hi_u32 v14, v3, v6
	v_mul_hi_u32 v15, v4, v7
	v_mul_lo_u32 v7, v4, v7
	v_mul_hi_u32 v16, v4, v6
	v_mul_lo_u32 v6, v4, v6
	v_add_co_u32 v12, vcc_lo, v12, v13
	v_add_co_ci_u32_e32 v13, vcc_lo, 0, v14, vcc_lo
	s_delay_alu instid0(VALU_DEP_2) | instskip(NEXT) | instid1(VALU_DEP_2)
	v_add_co_u32 v7, vcc_lo, v12, v7
	v_add_co_ci_u32_e32 v7, vcc_lo, v13, v15, vcc_lo
	v_add_co_ci_u32_e32 v12, vcc_lo, 0, v16, vcc_lo
	s_delay_alu instid0(VALU_DEP_2) | instskip(NEXT) | instid1(VALU_DEP_2)
	v_add_co_u32 v6, vcc_lo, v7, v6
	v_add_co_ci_u32_e32 v7, vcc_lo, 0, v12, vcc_lo
	s_delay_alu instid0(VALU_DEP_2) | instskip(NEXT) | instid1(VALU_DEP_2)
	v_add_co_u32 v3, vcc_lo, v3, v6
	v_add_co_ci_u32_e32 v4, vcc_lo, v4, v7, vcc_lo
	s_delay_alu instid0(VALU_DEP_2) | instskip(SKIP_1) | instid1(VALU_DEP_3)
	v_mul_hi_u32 v6, s2, v3
	v_mul_lo_u32 v12, s26, v3
	v_mul_lo_u32 v7, s2, v4
	s_delay_alu instid0(VALU_DEP_1) | instskip(SKIP_1) | instid1(VALU_DEP_2)
	v_add_nc_u32_e32 v6, v6, v7
	v_mul_lo_u32 v7, s2, v3
	v_add_nc_u32_e32 v6, v6, v12
	s_delay_alu instid0(VALU_DEP_2) | instskip(NEXT) | instid1(VALU_DEP_2)
	v_mul_hi_u32 v12, v3, v7
	v_mul_lo_u32 v13, v3, v6
	v_mul_hi_u32 v14, v3, v6
	v_mul_hi_u32 v15, v4, v7
	v_mul_lo_u32 v7, v4, v7
	v_mul_hi_u32 v16, v4, v6
	v_mul_lo_u32 v6, v4, v6
	v_add_co_u32 v12, vcc_lo, v12, v13
	v_add_co_ci_u32_e32 v13, vcc_lo, 0, v14, vcc_lo
	s_delay_alu instid0(VALU_DEP_2) | instskip(NEXT) | instid1(VALU_DEP_2)
	v_add_co_u32 v7, vcc_lo, v12, v7
	v_add_co_ci_u32_e32 v7, vcc_lo, v13, v15, vcc_lo
	v_add_co_ci_u32_e32 v12, vcc_lo, 0, v16, vcc_lo
	s_delay_alu instid0(VALU_DEP_2) | instskip(NEXT) | instid1(VALU_DEP_2)
	v_add_co_u32 v6, vcc_lo, v7, v6
	v_add_co_ci_u32_e32 v7, vcc_lo, 0, v12, vcc_lo
	s_delay_alu instid0(VALU_DEP_2) | instskip(NEXT) | instid1(VALU_DEP_2)
	v_add_co_u32 v12, vcc_lo, v3, v6
	v_add_co_ci_u32_e32 v14, vcc_lo, v4, v7, vcc_lo
	s_delay_alu instid0(VALU_DEP_2) | instskip(SKIP_1) | instid1(VALU_DEP_3)
	v_mul_hi_u32 v15, v10, v12
	v_mad_u64_u32 v[6:7], null, v11, v12, 0
	v_mad_u64_u32 v[3:4], null, v10, v14, 0
	;; [unrolled: 1-line block ×3, first 2 shown]
	s_delay_alu instid0(VALU_DEP_2) | instskip(NEXT) | instid1(VALU_DEP_3)
	v_add_co_u32 v3, vcc_lo, v15, v3
	v_add_co_ci_u32_e32 v4, vcc_lo, 0, v4, vcc_lo
	s_delay_alu instid0(VALU_DEP_2) | instskip(NEXT) | instid1(VALU_DEP_2)
	v_add_co_u32 v3, vcc_lo, v3, v6
	v_add_co_ci_u32_e32 v3, vcc_lo, v4, v7, vcc_lo
	v_add_co_ci_u32_e32 v4, vcc_lo, 0, v13, vcc_lo
	s_delay_alu instid0(VALU_DEP_2) | instskip(NEXT) | instid1(VALU_DEP_2)
	v_add_co_u32 v6, vcc_lo, v3, v12
	v_add_co_ci_u32_e32 v7, vcc_lo, 0, v4, vcc_lo
	s_delay_alu instid0(VALU_DEP_2) | instskip(SKIP_1) | instid1(VALU_DEP_3)
	v_mul_lo_u32 v12, s25, v6
	v_mad_u64_u32 v[3:4], null, s24, v6, 0
	v_mul_lo_u32 v13, s24, v7
	s_delay_alu instid0(VALU_DEP_2) | instskip(NEXT) | instid1(VALU_DEP_2)
	v_sub_co_u32 v3, vcc_lo, v10, v3
	v_add3_u32 v4, v4, v13, v12
	s_delay_alu instid0(VALU_DEP_1) | instskip(NEXT) | instid1(VALU_DEP_1)
	v_sub_nc_u32_e32 v12, v11, v4
	v_subrev_co_ci_u32_e64 v12, s2, s25, v12, vcc_lo
	v_add_co_u32 v13, s2, v6, 2
	s_delay_alu instid0(VALU_DEP_1) | instskip(SKIP_3) | instid1(VALU_DEP_3)
	v_add_co_ci_u32_e64 v14, s2, 0, v7, s2
	v_sub_co_u32 v15, s2, v3, s24
	v_sub_co_ci_u32_e32 v4, vcc_lo, v11, v4, vcc_lo
	v_subrev_co_ci_u32_e64 v12, s2, 0, v12, s2
	v_cmp_le_u32_e32 vcc_lo, s24, v15
	s_delay_alu instid0(VALU_DEP_3) | instskip(SKIP_1) | instid1(VALU_DEP_4)
	v_cmp_eq_u32_e64 s2, s25, v4
	v_cndmask_b32_e64 v15, 0, -1, vcc_lo
	v_cmp_le_u32_e32 vcc_lo, s25, v12
	v_cndmask_b32_e64 v16, 0, -1, vcc_lo
	v_cmp_le_u32_e32 vcc_lo, s24, v3
	;; [unrolled: 2-line block ×3, first 2 shown]
	v_cndmask_b32_e64 v17, 0, -1, vcc_lo
	v_cmp_eq_u32_e32 vcc_lo, s25, v12
	s_delay_alu instid0(VALU_DEP_2) | instskip(SKIP_3) | instid1(VALU_DEP_3)
	v_cndmask_b32_e64 v3, v17, v3, s2
	v_cndmask_b32_e32 v12, v16, v15, vcc_lo
	v_add_co_u32 v15, vcc_lo, v6, 1
	v_add_co_ci_u32_e32 v16, vcc_lo, 0, v7, vcc_lo
	v_cmp_ne_u32_e32 vcc_lo, 0, v12
	s_delay_alu instid0(VALU_DEP_2) | instskip(NEXT) | instid1(VALU_DEP_4)
	v_cndmask_b32_e32 v4, v16, v14, vcc_lo
	v_cndmask_b32_e32 v12, v15, v13, vcc_lo
	v_cmp_ne_u32_e32 vcc_lo, 0, v3
	s_delay_alu instid0(VALU_DEP_3) | instskip(NEXT) | instid1(VALU_DEP_3)
	v_cndmask_b32_e32 v4, v7, v4, vcc_lo
	v_cndmask_b32_e32 v3, v6, v12, vcc_lo
.LBB0_4:                                ;   in Loop: Header=BB0_2 Depth=1
	s_and_not1_saveexec_b32 s2, s3
	s_cbranch_execz .LBB0_6
; %bb.5:                                ;   in Loop: Header=BB0_2 Depth=1
	v_cvt_f32_u32_e32 v3, s24
	s_sub_i32 s3, 0, s24
	s_delay_alu instid0(VALU_DEP_1) | instskip(SKIP_2) | instid1(VALU_DEP_1)
	v_rcp_iflag_f32_e32 v3, v3
	s_waitcnt_depctr 0xfff
	v_mul_f32_e32 v3, 0x4f7ffffe, v3
	v_cvt_u32_f32_e32 v3, v3
	s_delay_alu instid0(VALU_DEP_1) | instskip(NEXT) | instid1(VALU_DEP_1)
	v_mul_lo_u32 v4, s3, v3
	v_mul_hi_u32 v4, v3, v4
	s_delay_alu instid0(VALU_DEP_1) | instskip(NEXT) | instid1(VALU_DEP_1)
	v_add_nc_u32_e32 v3, v3, v4
	v_mul_hi_u32 v3, v10, v3
	s_delay_alu instid0(VALU_DEP_1) | instskip(SKIP_1) | instid1(VALU_DEP_2)
	v_mul_lo_u32 v4, v3, s24
	v_add_nc_u32_e32 v6, 1, v3
	v_sub_nc_u32_e32 v4, v10, v4
	s_delay_alu instid0(VALU_DEP_1) | instskip(SKIP_1) | instid1(VALU_DEP_2)
	v_subrev_nc_u32_e32 v7, s24, v4
	v_cmp_le_u32_e32 vcc_lo, s24, v4
	v_dual_cndmask_b32 v4, v4, v7 :: v_dual_cndmask_b32 v3, v3, v6
	s_delay_alu instid0(VALU_DEP_1) | instskip(NEXT) | instid1(VALU_DEP_2)
	v_cmp_le_u32_e32 vcc_lo, s24, v4
	v_add_nc_u32_e32 v6, 1, v3
	s_delay_alu instid0(VALU_DEP_1)
	v_dual_mov_b32 v4, v5 :: v_dual_cndmask_b32 v3, v3, v6
.LBB0_6:                                ;   in Loop: Header=BB0_2 Depth=1
	s_or_b32 exec_lo, exec_lo, s2
	s_delay_alu instid0(VALU_DEP_1) | instskip(NEXT) | instid1(VALU_DEP_2)
	v_mul_lo_u32 v12, v4, s24
	v_mul_lo_u32 v13, v3, s25
	s_load_b64 s[2:3], s[14:15], 0x0
	v_mad_u64_u32 v[6:7], null, v3, s24, 0
	s_load_b64 s[24:25], s[12:13], 0x0
	s_add_u32 s22, s22, 1
	s_addc_u32 s23, s23, 0
	s_add_u32 s12, s12, 8
	s_addc_u32 s13, s13, 0
	s_add_u32 s14, s14, 8
	s_delay_alu instid0(VALU_DEP_1) | instskip(SKIP_3) | instid1(VALU_DEP_2)
	v_add3_u32 v7, v7, v13, v12
	v_sub_co_u32 v12, vcc_lo, v10, v6
	s_addc_u32 s15, s15, 0
	s_add_u32 s20, s20, 8
	v_sub_co_ci_u32_e32 v10, vcc_lo, v11, v7, vcc_lo
	s_addc_u32 s21, s21, 0
	s_waitcnt lgkmcnt(0)
	s_delay_alu instid0(VALU_DEP_1)
	v_mul_lo_u32 v13, s2, v10
	v_mul_lo_u32 v14, s3, v12
	v_mad_u64_u32 v[6:7], null, s2, v12, v[8:9]
	v_mul_lo_u32 v15, s24, v10
	v_mul_lo_u32 v16, s25, v12
	v_mad_u64_u32 v[10:11], null, s24, v12, v[1:2]
	v_cmp_ge_u64_e64 s2, s[22:23], s[10:11]
	v_add3_u32 v9, v14, v7, v13
	v_mov_b32_e32 v8, v6
	s_delay_alu instid0(VALU_DEP_4)
	v_add3_u32 v2, v16, v11, v15
	v_mov_b32_e32 v1, v10
	s_and_b32 vcc_lo, exec_lo, s2
	s_cbranch_vccnz .LBB0_9
; %bb.7:                                ;   in Loop: Header=BB0_2 Depth=1
	v_dual_mov_b32 v11, v4 :: v_dual_mov_b32 v10, v3
	s_branch .LBB0_2
.LBB0_8:
	v_dual_mov_b32 v1, v8 :: v_dual_mov_b32 v2, v9
	v_dual_mov_b32 v3, v10 :: v_dual_mov_b32 v4, v11
.LBB0_9:
	s_load_b64 s[0:1], s[0:1], 0x28
	v_mul_hi_u32 v6, 0x10624de, v0
	s_lshl_b64 s[10:11], s[10:11], 3
                                        ; implicit-def: $vgpr5
                                        ; implicit-def: $vgpr7
	s_delay_alu instid0(SALU_CYCLE_1) | instskip(SKIP_4) | instid1(VALU_DEP_1)
	s_add_u32 s2, s18, s10
	s_addc_u32 s3, s19, s11
	s_waitcnt lgkmcnt(0)
	v_cmp_gt_u64_e32 vcc_lo, s[0:1], v[3:4]
	v_cmp_le_u64_e64 s0, s[0:1], v[3:4]
	s_and_saveexec_b32 s1, s0
	s_delay_alu instid0(SALU_CYCLE_1)
	s_xor_b32 s0, exec_lo, s1
; %bb.10:
	v_mul_u32_u24_e32 v5, 0xfa, v6
                                        ; implicit-def: $vgpr6
                                        ; implicit-def: $vgpr8_vgpr9
	s_delay_alu instid0(VALU_DEP_1) | instskip(NEXT) | instid1(VALU_DEP_1)
	v_sub_nc_u32_e32 v5, v0, v5
                                        ; implicit-def: $vgpr0
	v_add_nc_u32_e32 v7, 0xfa, v5
; %bb.11:
	s_and_not1_saveexec_b32 s1, s0
	s_cbranch_execz .LBB0_13
; %bb.12:
	s_add_u32 s10, s16, s10
	s_addc_u32 s11, s17, s11
	v_lshlrev_b64 v[8:9], 2, v[8:9]
	s_load_b64 s[10:11], s[10:11], 0x0
	s_waitcnt lgkmcnt(0)
	v_mul_lo_u32 v5, s11, v3
	v_mul_lo_u32 v7, s10, v4
	v_mad_u64_u32 v[10:11], null, s10, v3, 0
	s_delay_alu instid0(VALU_DEP_1) | instskip(SKIP_1) | instid1(VALU_DEP_2)
	v_add3_u32 v11, v11, v7, v5
	v_mul_u32_u24_e32 v5, 0xfa, v6
	v_lshlrev_b64 v[6:7], 2, v[10:11]
	s_delay_alu instid0(VALU_DEP_2) | instskip(NEXT) | instid1(VALU_DEP_1)
	v_sub_nc_u32_e32 v5, v0, v5
	v_lshlrev_b32_e32 v12, 2, v5
	s_delay_alu instid0(VALU_DEP_3) | instskip(NEXT) | instid1(VALU_DEP_1)
	v_add_co_u32 v0, s0, s4, v6
	v_add_co_ci_u32_e64 v6, s0, s5, v7, s0
	s_delay_alu instid0(VALU_DEP_2) | instskip(NEXT) | instid1(VALU_DEP_1)
	v_add_co_u32 v0, s0, v0, v8
	v_add_co_ci_u32_e64 v7, s0, v6, v9, s0
	s_delay_alu instid0(VALU_DEP_2) | instskip(NEXT) | instid1(VALU_DEP_1)
	;; [unrolled: 3-line block ×3, first 2 shown]
	v_add_co_u32 v8, s0, 0x1000, v6
	v_add_co_ci_u32_e64 v9, s0, 0, v7, s0
	v_add_co_u32 v10, s0, 0x2000, v6
	s_delay_alu instid0(VALU_DEP_1)
	v_add_co_ci_u32_e64 v11, s0, 0, v7, s0
	s_clause 0x9
	global_load_b32 v0, v[6:7], off
	global_load_b32 v13, v[6:7], off offset:1000
	global_load_b32 v14, v[6:7], off offset:2000
	;; [unrolled: 1-line block ×9, first 2 shown]
	v_add_nc_u32_e32 v10, 0, v12
	v_add_nc_u32_e32 v7, 0xfa, v5
	s_delay_alu instid0(VALU_DEP_2)
	v_add_nc_u32_e32 v11, 0x7c0, v10
	v_add_nc_u32_e32 v12, 0xfa0, v10
	;; [unrolled: 1-line block ×4, first 2 shown]
	s_waitcnt vmcnt(8)
	ds_store_2addr_b32 v10, v0, v13 offset1:250
	s_waitcnt vmcnt(6)
	ds_store_2addr_b32 v11, v14, v15 offset0:4 offset1:254
	s_waitcnt vmcnt(4)
	ds_store_2addr_b32 v12, v6, v16 offset1:250
	s_waitcnt vmcnt(2)
	ds_store_2addr_b32 v19, v17, v18 offset0:4 offset1:254
	s_waitcnt vmcnt(0)
	ds_store_2addr_b32 v20, v8, v9 offset1:250
.LBB0_13:
	s_or_b32 exec_lo, exec_lo, s1
	v_lshlrev_b32_e32 v8, 2, v5
	s_load_b64 s[2:3], s[2:3], 0x0
	s_waitcnt lgkmcnt(0)
	s_barrier
	buffer_gl0_inv
	v_add_nc_u32_e32 v0, 0, v8
	s_add_u32 s1, s8, 0x26e8
	s_addc_u32 s4, s9, 0
	s_mov_b32 s5, exec_lo
	s_delay_alu instid0(VALU_DEP_1)
	v_add_nc_u32_e32 v12, 0xfa0, v0
	v_add_nc_u32_e32 v13, 0x1760, v0
	;; [unrolled: 1-line block ×4, first 2 shown]
	ds_load_2addr_b32 v[9:10], v0 offset1:250
	ds_load_2addr_b32 v[15:16], v12 offset1:250
	ds_load_2addr_b32 v[17:18], v13 offset0:4 offset1:254
	ds_load_2addr_b32 v[19:20], v6 offset0:4 offset1:254
	ds_load_2addr_b32 v[21:22], v14 offset1:250
	v_mad_u32_u24 v11, v5, 36, v0
	s_waitcnt lgkmcnt(0)
	s_barrier
	buffer_gl0_inv
	v_lshrrev_b32_e32 v23, 16, v9
	v_lshrrev_b32_e32 v27, 16, v15
	v_add_f16_e32 v24, v15, v17
	v_lshrrev_b32_e32 v25, 16, v19
	v_lshrrev_b32_e32 v26, 16, v21
	;; [unrolled: 1-line block ×3, first 2 shown]
	v_add_f16_e32 v31, v19, v21
	v_pk_add_f16 v34, v9, v19
	v_sub_f16_e32 v30, v19, v15
	v_sub_f16_e32 v33, v15, v19
	;; [unrolled: 1-line block ×3, first 2 shown]
	v_fma_f16 v24, -0.5, v24, v9
	v_sub_f16_e32 v36, v25, v26
	v_fma_f16 v9, -0.5, v31, v9
	v_pk_add_f16 v15, v34, v15
	v_add_f16_e32 v31, v27, v28
	v_sub_f16_e32 v29, v21, v17
	v_sub_f16_e32 v32, v17, v21
	;; [unrolled: 1-line block ×4, first 2 shown]
	v_fmamk_f16 v38, v36, 0x3b9c, v24
	v_fmac_f16_e32 v24, 0xbb9c, v36
	v_pk_add_f16 v15, v15, v17
	v_fma_f16 v17, -0.5, v31, v23
	v_add_f16_e32 v29, v30, v29
	v_add_f16_e32 v30, v33, v32
	v_sub_f16_e32 v32, v25, v27
	v_sub_f16_e32 v33, v26, v28
	v_fmamk_f16 v39, v37, 0xbb9c, v9
	v_fmac_f16_e32 v9, 0x3b9c, v37
	v_fmac_f16_e32 v38, 0x38b4, v37
	;; [unrolled: 1-line block ×3, first 2 shown]
	v_fmamk_f16 v31, v19, 0xbb9c, v17
	v_fmac_f16_e32 v17, 0x3b9c, v19
	v_fmac_f16_e32 v39, 0x38b4, v36
	;; [unrolled: 1-line block ×6, first 2 shown]
	v_add_f16_e32 v29, v32, v33
	v_fmac_f16_e32 v17, 0x38b4, v35
	v_add_f16_e32 v34, v25, v26
	v_fmac_f16_e32 v39, 0x34f2, v30
	v_fmac_f16_e32 v9, 0x34f2, v30
	;; [unrolled: 1-line block ×4, first 2 shown]
	v_add_f16_e32 v29, v16, v18
	v_lshrrev_b32_e32 v30, 16, v20
	v_lshrrev_b32_e32 v32, 16, v22
	v_fmac_f16_e32 v23, -0.5, v34
	v_sub_f16_e32 v25, v27, v25
	v_sub_f16_e32 v26, v28, v26
	v_fma_f16 v27, -0.5, v29, v10
	v_sub_f16_e32 v28, v30, v32
	v_lshrrev_b32_e32 v29, 16, v16
	v_lshrrev_b32_e32 v33, 16, v18
	v_pk_add_f16 v15, v15, v21
	v_fmamk_f16 v21, v35, 0x3b9c, v23
	v_add_f16_e32 v25, v25, v26
	v_fmac_f16_e32 v23, 0xbb9c, v35
	v_fmamk_f16 v26, v28, 0x3b9c, v27
	v_add_f16_e32 v34, v20, v22
	v_sub_f16_e32 v35, v29, v33
	v_sub_f16_e32 v36, v22, v18
	v_sub_f16_e32 v37, v20, v16
	v_fmac_f16_e32 v27, 0xbb9c, v28
	v_fmac_f16_e32 v21, 0xb8b4, v19
	v_fma_f16 v34, -0.5, v34, v10
	v_fmac_f16_e32 v23, 0x38b4, v19
	v_fmac_f16_e32 v26, 0x38b4, v35
	v_add_f16_e32 v19, v37, v36
	v_sub_f16_e32 v37, v18, v22
	v_sub_f16_e32 v40, v16, v20
	v_fmac_f16_e32 v27, 0xb8b4, v35
	v_fmac_f16_e32 v21, 0x34f2, v25
	v_fmamk_f16 v36, v35, 0xbb9c, v34
	v_fmac_f16_e32 v23, 0x34f2, v25
	v_fmac_f16_e32 v26, 0x34f2, v19
	v_add_f16_e32 v25, v40, v37
	v_fmac_f16_e32 v34, 0x3b9c, v35
	v_add_f16_e32 v35, v29, v33
	v_lshrrev_b32_e32 v37, 16, v10
	v_fmac_f16_e32 v27, 0x34f2, v19
	v_add_f16_e32 v19, v30, v32
	v_fmac_f16_e32 v36, 0x38b4, v28
	v_fmac_f16_e32 v34, 0xb8b4, v28
	v_fma_f16 v28, -0.5, v35, v37
	v_sub_f16_e32 v35, v20, v22
	v_sub_f16_e32 v40, v16, v18
	v_fmac_f16_e32 v37, -0.5, v19
	v_fmac_f16_e32 v36, 0x34f2, v25
	v_fmac_f16_e32 v34, 0x34f2, v25
	v_pk_add_f16 v10, v10, v20
	v_fmamk_f16 v19, v35, 0xbb9c, v28
	v_sub_f16_e32 v20, v30, v29
	v_fmamk_f16 v25, v40, 0x3b9c, v37
	v_sub_f16_e32 v29, v29, v30
	v_sub_f16_e32 v30, v33, v32
	;; [unrolled: 1-line block ×3, first 2 shown]
	v_fmac_f16_e32 v37, 0xbb9c, v40
	v_fmac_f16_e32 v19, 0xb8b4, v40
	;; [unrolled: 1-line block ×3, first 2 shown]
	v_add_f16_e32 v29, v29, v30
	v_add_f16_e32 v20, v20, v32
	v_fmac_f16_e32 v37, 0x38b4, v35
	v_fmac_f16_e32 v25, 0xb8b4, v35
	v_pk_add_f16 v10, v10, v16
	v_fmac_f16_e32 v28, 0x38b4, v40
	v_fmac_f16_e32 v19, 0x34f2, v20
	;; [unrolled: 1-line block ×3, first 2 shown]
	v_mul_f16_e32 v16, 0x3a79, v26
	v_fmac_f16_e32 v25, 0x34f2, v29
	v_mul_f16_e32 v30, 0x34f2, v34
	v_pk_add_f16 v10, v10, v18
	v_fmac_f16_e32 v28, 0x34f2, v20
	v_fmac_f16_e32 v16, 0x38b4, v19
	v_mul_f16_e32 v20, 0x3a79, v27
	v_mul_f16_e32 v26, 0xb8b4, v26
	;; [unrolled: 1-line block ×4, first 2 shown]
	v_fma_f16 v18, v37, 0x3b9c, -v30
	v_pk_add_f16 v10, v10, v22
	v_add_f16_e32 v22, v38, v16
	v_fma_f16 v20, v28, 0x38b4, -v20
	v_mul_f16_e32 v33, 0xbb9c, v36
	v_fmac_f16_e32 v26, 0x3a79, v19
	v_fma_f16 v19, v34, 0xbb9c, -v35
	v_sub_f16_e32 v16, v38, v16
	v_and_b32_e32 v38, 0xff, v5
	v_fmac_f16_e32 v29, 0x34f2, v36
	v_add_f16_e32 v32, v9, v18
	v_mul_f16_e32 v28, 0x3a79, v28
	v_add_f16_e32 v36, v24, v20
	v_fmac_f16_e32 v33, 0x34f2, v25
	v_add_f16_e32 v35, v23, v19
	v_sub_f16_e32 v9, v9, v18
	v_sub_f16_e32 v18, v24, v20
	;; [unrolled: 1-line block ×3, first 2 shown]
	v_mul_lo_u16 v23, 0xcd, v38
	v_and_b32_e32 v24, 0xffff, v7
	v_add_f16_e32 v30, v39, v29
	v_fma_f16 v25, v27, 0xb8b4, -v28
	v_add_f16_e32 v28, v31, v26
	v_add_f16_e32 v34, v21, v33
	v_sub_f16_e32 v20, v31, v26
	v_lshrrev_b16 v26, 11, v23
	v_mul_u32_u24_e32 v23, 0xcccd, v24
	v_add_f16_e32 v37, v17, v25
	v_sub_f16_e32 v17, v17, v25
	v_pack_b32_f16 v25, v30, v34
	v_pack_b32_f16 v22, v22, v28
	v_lshrrev_b32_e32 v34, 19, v23
	v_mul_lo_u16 v28, v26, 10
	v_sub_f16_e32 v29, v39, v29
	v_sub_f16_e32 v21, v21, v33
	v_pack_b32_f16 v16, v16, v20
	v_mul_lo_u16 v23, v34, 10
	v_sub_nc_u16 v20, v5, v28
	v_pk_add_f16 v27, v15, v10
	v_pack_b32_f16 v17, v18, v17
	v_pack_b32_f16 v24, v32, v35
	v_sub_nc_u16 v18, v7, v23
	v_pk_add_f16 v10, v15, v10 neg_lo:[0,1] neg_hi:[0,1]
	v_pack_b32_f16 v15, v36, v37
	v_pack_b32_f16 v21, v29, v21
	;; [unrolled: 1-line block ×3, first 2 shown]
	v_and_b32_e32 v35, 0xff, v20
	ds_store_2addr_b32 v11, v27, v22 offset1:1
	ds_store_2addr_b32 v11, v25, v24 offset0:2 offset1:3
	ds_store_2addr_b32 v11, v15, v10 offset0:4 offset1:5
	;; [unrolled: 1-line block ×4, first 2 shown]
	v_and_b32_e32 v9, 0xffff, v18
	s_waitcnt lgkmcnt(0)
	s_barrier
	v_lshlrev_b32_e32 v10, 4, v35
	buffer_gl0_inv
	v_lshlrev_b32_e32 v11, 4, v9
	s_clause 0x1
	global_load_b128 v[18:21], v10, s[8:9]
	global_load_b128 v[22:25], v11, s[8:9]
	v_mul_lo_u16 v10, v38, 41
	v_and_b32_e32 v36, 0xffff, v26
	v_lshlrev_b32_e32 v35, 2, v35
	v_lshlrev_b32_e32 v9, 2, v9
	s_delay_alu instid0(VALU_DEP_4) | instskip(SKIP_1) | instid1(VALU_DEP_2)
	v_lshrrev_b16 v16, 11, v10
	v_lshlrev_b32_e32 v10, 2, v7
	v_mul_lo_u16 v11, v16, 50
	s_delay_alu instid0(VALU_DEP_2)
	v_add_nc_u32_e32 v15, 0, v10
	ds_load_b32 v37, v0
	ds_load_b32 v38, v15
	ds_load_2addr_b32 v[26:27], v12 offset1:250
	ds_load_2addr_b32 v[28:29], v13 offset0:4 offset1:254
	ds_load_2addr_b32 v[30:31], v14 offset1:250
	ds_load_2addr_b32 v[32:33], v6 offset0:4 offset1:254
	v_sub_nc_u16 v11, v5, v11
	s_waitcnt vmcnt(0) lgkmcnt(0)
	s_barrier
	buffer_gl0_inv
	v_and_b32_e32 v16, 0xffff, v16
	v_and_b32_e32 v17, 0xff, v11
	v_mul_u32_u24_e32 v11, 0xc8, v34
	v_mul_u32_u24_e32 v34, 0xc8, v36
	s_delay_alu instid0(VALU_DEP_3) | instskip(NEXT) | instid1(VALU_DEP_3)
	v_mul_u32_u24_e32 v36, 9, v17
	v_add3_u32 v9, 0, v11, v9
	s_delay_alu instid0(VALU_DEP_3) | instskip(SKIP_1) | instid1(VALU_DEP_4)
	v_add3_u32 v34, 0, v34, v35
	v_lshrrev_b32_e32 v35, 16, v37
	v_lshlrev_b32_e32 v11, 2, v36
	v_lshrrev_b32_e32 v43, 16, v26
	v_lshrrev_b32_e32 v44, 16, v28
	;; [unrolled: 1-line block ×17, first 2 shown]
	v_mul_f16_e32 v55, v47, v42
	v_mul_f16_e32 v47, v47, v32
	;; [unrolled: 1-line block ×16, first 2 shown]
	v_fma_f16 v32, v18, v32, -v55
	v_fmac_f16_e32 v47, v18, v42
	v_fma_f16 v18, v19, v26, -v56
	v_fmac_f16_e32 v48, v19, v43
	;; [unrolled: 2-line block ×8, first 2 shown]
	v_add_f16_e32 v25, v37, v32
	v_add_f16_e32 v26, v18, v19
	v_sub_f16_e32 v29, v32, v18
	v_sub_f16_e32 v30, v20, v19
	v_add_f16_e32 v31, v32, v20
	v_add_f16_e32 v40, v35, v47
	;; [unrolled: 1-line block ×4, first 2 shown]
	v_sub_f16_e32 v33, v18, v32
	v_sub_f16_e32 v39, v19, v20
	;; [unrolled: 1-line block ×4, first 2 shown]
	v_add_f16_e32 v55, v38, v21
	v_add_f16_e32 v56, v22, v23
	;; [unrolled: 1-line block ×6, first 2 shown]
	v_sub_f16_e32 v27, v47, v50
	v_sub_f16_e32 v32, v32, v20
	;; [unrolled: 1-line block ×3, first 2 shown]
	v_add_f16_e32 v18, v25, v18
	v_fma_f16 v25, -0.5, v26, v37
	v_add_f16_e32 v26, v29, v30
	v_fmac_f16_e32 v37, -0.5, v31
	v_add_f16_e32 v30, v40, v48
	v_fma_f16 v31, -0.5, v41, v35
	v_sub_f16_e32 v28, v48, v49
	v_sub_f16_e32 v46, v48, v47
	;; [unrolled: 1-line block ×7, first 2 shown]
	v_fmac_f16_e32 v35, -0.5, v45
	v_sub_f16_e32 v59, v21, v22
	v_sub_f16_e32 v62, v22, v21
	;; [unrolled: 1-line block ×4, first 2 shown]
	v_add_f16_e32 v29, v33, v39
	v_add_f16_e32 v33, v43, v44
	;; [unrolled: 1-line block ×3, first 2 shown]
	v_fma_f16 v40, -0.5, v56, v38
	v_add_f16_e32 v44, v64, v52
	v_fma_f16 v45, -0.5, v65, v36
	v_sub_f16_e32 v58, v52, v53
	v_fmac_f16_e32 v38, -0.5, v61
	v_fmac_f16_e32 v36, -0.5, v69
	v_add_f16_e32 v18, v18, v19
	v_fmamk_f16 v19, v27, 0x3b9c, v25
	v_add_f16_e32 v30, v30, v49
	v_fmamk_f16 v49, v32, 0xbb9c, v31
	v_add_f16_e32 v39, v46, v47
	v_add_f16_e32 v47, v51, v70
	v_fmamk_f16 v48, v28, 0xbb9c, v37
	v_fmac_f16_e32 v37, 0x3b9c, v28
	v_fmamk_f16 v51, v42, 0x3b9c, v35
	v_fmac_f16_e32 v35, 0xbb9c, v42
	v_fmac_f16_e32 v25, 0xbb9c, v27
	;; [unrolled: 1-line block ×3, first 2 shown]
	v_sub_f16_e32 v60, v24, v23
	v_sub_f16_e32 v63, v23, v24
	;; [unrolled: 1-line block ×3, first 2 shown]
	v_add_f16_e32 v22, v22, v23
	v_fmamk_f16 v23, v57, 0x3b9c, v40
	v_add_f16_e32 v44, v44, v53
	v_fmamk_f16 v53, v21, 0xbb9c, v45
	v_fmamk_f16 v52, v58, 0xbb9c, v38
	v_fmac_f16_e32 v38, 0x3b9c, v58
	v_fmamk_f16 v55, v66, 0x3b9c, v36
	v_fmac_f16_e32 v36, 0xbb9c, v66
	v_fmac_f16_e32 v40, 0xbb9c, v57
	;; [unrolled: 1-line block ×11, first 2 shown]
	v_add_f16_e32 v41, v59, v60
	v_add_f16_e32 v46, v67, v68
	v_fmac_f16_e32 v23, 0x38b4, v58
	v_fmac_f16_e32 v53, 0xb8b4, v66
	v_add_f16_e32 v43, v62, v63
	v_fmac_f16_e32 v52, 0x38b4, v57
	v_fmac_f16_e32 v38, 0xb8b4, v57
	;; [unrolled: 1-line block ×4, first 2 shown]
	v_add_f16_e32 v18, v18, v20
	v_add_f16_e32 v20, v30, v50
	v_fmac_f16_e32 v40, 0xb8b4, v58
	v_fmac_f16_e32 v45, 0x38b4, v66
	;; [unrolled: 1-line block ×4, first 2 shown]
	v_add_f16_e32 v22, v22, v24
	v_add_f16_e32 v24, v44, v54
	v_fmac_f16_e32 v48, 0x34f2, v29
	v_fmac_f16_e32 v37, 0x34f2, v29
	;; [unrolled: 1-line block ×14, first 2 shown]
	v_pack_b32_f16 v18, v18, v20
	v_pack_b32_f16 v19, v19, v49
	;; [unrolled: 1-line block ×10, first 2 shown]
	ds_store_2addr_b32 v34, v18, v19 offset1:10
	ds_store_2addr_b32 v34, v21, v22 offset0:20 offset1:30
	ds_store_b32 v34, v24 offset:160
	ds_store_2addr_b32 v9, v20, v23 offset1:10
	ds_store_2addr_b32 v9, v25, v26 offset0:20 offset1:30
	ds_store_b32 v9, v27 offset:160
	s_waitcnt lgkmcnt(0)
	s_barrier
	buffer_gl0_inv
	s_clause 0x2
	global_load_b128 v[18:21], v11, s[8:9] offset:160
	global_load_b128 v[22:25], v11, s[8:9] offset:176
	global_load_b32 v34, v11, s[8:9] offset:192
	v_mov_b32_e32 v9, 0
	v_mul_u32_u24_e32 v35, 0x7d0, v16
	v_lshlrev_b32_e32 v37, 2, v17
	s_delay_alu instid0(VALU_DEP_3)
	v_mov_b32_e32 v11, v9
	ds_load_b32 v36, v0
	ds_load_2addr_b32 v[28:29], v13 offset0:4 offset1:254
	ds_load_2addr_b32 v[16:17], v14 offset1:250
	ds_load_b32 v38, v15
	ds_load_2addr_b32 v[30:31], v6 offset0:4 offset1:254
	ds_load_2addr_b32 v[32:33], v12 offset1:250
	v_lshlrev_b64 v[26:27], 2, v[8:9]
	v_add3_u32 v35, 0, v35, v37
	v_lshlrev_b64 v[10:11], 2, v[10:11]
	s_waitcnt vmcnt(0) lgkmcnt(0)
	s_barrier
	buffer_gl0_inv
	v_add_co_u32 v26, s0, s8, v26
	s_delay_alu instid0(VALU_DEP_1) | instskip(SKIP_1) | instid1(VALU_DEP_1)
	v_add_co_ci_u32_e64 v27, s0, s9, v27, s0
	v_add_co_u32 v10, s0, s8, v10
	v_add_co_ci_u32_e64 v11, s0, s9, v11, s0
	v_add_nc_u32_e32 v37, 0x400, v35
	v_lshrrev_b32_e32 v42, 16, v16
	v_lshrrev_b32_e32 v44, 16, v38
	;; [unrolled: 1-line block ×19, first 2 shown]
	v_mul_f16_e32 v58, v49, v44
	v_mul_f16_e32 v49, v49, v38
	v_mul_f16_e32 v59, v50, v45
	v_mul_f16_e32 v50, v50, v30
	v_mul_f16_e32 v60, v51, v46
	v_mul_f16_e32 v51, v51, v31
	v_mul_f16_e32 v61, v52, v47
	v_mul_f16_e32 v52, v52, v32
	v_mul_f16_e32 v62, v53, v48
	v_mul_f16_e32 v53, v53, v33
	v_mul_f16_e32 v63, v40, v54
	v_mul_f16_e32 v54, v28, v54
	v_mul_f16_e32 v64, v41, v55
	v_mul_f16_e32 v55, v29, v55
	v_mul_f16_e32 v65, v42, v56
	v_mul_f16_e32 v56, v16, v56
	v_mul_f16_e32 v66, v43, v57
	v_mul_f16_e32 v57, v17, v57
	v_fma_f16 v38, v18, v38, -v58
	v_fmac_f16_e32 v49, v18, v44
	v_fma_f16 v18, v19, v30, -v59
	v_fmac_f16_e32 v50, v19, v45
	;; [unrolled: 2-line block ×9, first 2 shown]
	v_add_f16_e32 v24, v36, v18
	v_add_f16_e32 v25, v20, v22
	v_sub_f16_e32 v28, v50, v56
	v_sub_f16_e32 v30, v18, v20
	;; [unrolled: 1-line block ×3, first 2 shown]
	v_add_f16_e32 v32, v18, v16
	v_add_f16_e32 v40, v39, v50
	;; [unrolled: 1-line block ×3, first 2 shown]
	v_sub_f16_e32 v43, v50, v52
	v_add_f16_e32 v45, v50, v56
	v_sub_f16_e32 v46, v52, v50
	v_add_f16_e32 v48, v38, v19
	v_add_f16_e32 v50, v21, v23
	;; [unrolled: 1-line block ×5, first 2 shown]
	v_sub_f16_e32 v33, v20, v18
	v_sub_f16_e32 v34, v22, v16
	;; [unrolled: 1-line block ×7, first 2 shown]
	v_add_f16_e32 v65, v49, v51
	v_sub_f16_e32 v19, v19, v17
	v_sub_f16_e32 v67, v21, v23
	v_add_f16_e32 v20, v24, v20
	v_fma_f16 v24, -0.5, v25, v36
	v_add_f16_e32 v25, v30, v31
	v_fmac_f16_e32 v36, -0.5, v32
	v_add_f16_e32 v31, v40, v52
	v_fma_f16 v32, -0.5, v41, v39
	v_fmac_f16_e32 v39, -0.5, v45
	v_add_f16_e32 v21, v48, v21
	v_fma_f16 v40, -0.5, v50, v38
	v_fma_f16 v45, -0.5, v66, v49
	v_sub_f16_e32 v59, v53, v55
	v_fmac_f16_e32 v38, -0.5, v62
	v_fmac_f16_e32 v49, -0.5, v70
	v_sub_f16_e32 v47, v54, v56
	v_sub_f16_e32 v61, v17, v23
	;; [unrolled: 1-line block ×7, first 2 shown]
	v_add_f16_e32 v30, v33, v34
	v_add_f16_e32 v33, v43, v44
	;; [unrolled: 1-line block ×4, first 2 shown]
	v_fmamk_f16 v23, v58, 0x3b9c, v40
	v_fmamk_f16 v53, v19, 0xbb9c, v45
	v_sub_f16_e32 v29, v52, v54
	v_add_f16_e32 v31, v31, v54
	v_fmamk_f16 v52, v59, 0xbb9c, v38
	v_fmac_f16_e32 v38, 0x3b9c, v59
	v_fmamk_f16 v54, v67, 0x3b9c, v49
	v_fmac_f16_e32 v49, 0xbb9c, v67
	v_sub_f16_e32 v18, v18, v16
	v_fmac_f16_e32 v40, 0xbb9c, v58
	v_fmac_f16_e32 v45, 0x3b9c, v19
	v_add_f16_e32 v34, v46, v47
	v_add_f16_e32 v41, v60, v61
	;; [unrolled: 1-line block ×5, first 2 shown]
	v_fmamk_f16 v51, v42, 0x3b9c, v39
	v_fmac_f16_e32 v39, 0xbb9c, v42
	v_add_f16_e32 v44, v44, v55
	v_fmac_f16_e32 v23, 0x38b4, v59
	v_fmac_f16_e32 v53, 0xb8b4, v67
	v_add_f16_e32 v43, v63, v64
	v_fmamk_f16 v22, v28, 0x3b9c, v24
	v_fmac_f16_e32 v24, 0xbb9c, v28
	v_fmamk_f16 v48, v29, 0xbb9c, v36
	v_fmac_f16_e32 v36, 0x3b9c, v29
	v_fmac_f16_e32 v52, 0x38b4, v58
	;; [unrolled: 1-line block ×5, first 2 shown]
	v_fmamk_f16 v50, v18, 0xbb9c, v32
	v_fmac_f16_e32 v32, 0x3b9c, v18
	v_fmac_f16_e32 v40, 0xb8b4, v59
	;; [unrolled: 1-line block ×3, first 2 shown]
	v_add_f16_e32 v16, v20, v16
	v_add_f16_e32 v20, v31, v56
	v_fmac_f16_e32 v51, 0xb8b4, v18
	v_fmac_f16_e32 v39, 0x38b4, v18
	v_add_f16_e32 v17, v21, v17
	v_add_f16_e32 v18, v44, v57
	v_fmac_f16_e32 v23, 0x34f2, v41
	v_fmac_f16_e32 v53, 0x34f2, v46
	;; [unrolled: 1-line block ×14, first 2 shown]
	v_add_f16_e32 v19, v16, v17
	v_add_f16_e32 v21, v20, v18
	v_sub_f16_e32 v16, v16, v17
	v_sub_f16_e32 v17, v20, v18
	v_mul_f16_e32 v18, 0x38b4, v53
	v_mul_f16_e32 v29, 0xb8b4, v23
	v_fmac_f16_e32 v22, 0x34f2, v25
	v_fmac_f16_e32 v24, 0x34f2, v25
	v_fmac_f16_e32 v48, 0x34f2, v30
	v_fmac_f16_e32 v36, 0x34f2, v30
	v_mul_f16_e32 v20, 0x3b9c, v54
	v_mul_f16_e32 v25, 0x34f2, v38
	;; [unrolled: 1-line block ×4, first 2 shown]
	v_fmac_f16_e32 v50, 0x34f2, v33
	v_fmac_f16_e32 v32, 0x34f2, v33
	v_mul_f16_e32 v28, 0x3a79, v40
	v_mul_f16_e32 v33, 0x3a79, v45
	v_fmac_f16_e32 v18, 0x3a79, v23
	v_fmac_f16_e32 v29, 0x3a79, v53
	;; [unrolled: 1-line block ×4, first 2 shown]
	v_pack_b32_f16 v16, v16, v17
	v_fmac_f16_e32 v20, 0x34f2, v52
	v_fma_f16 v17, v49, 0x3b9c, -v25
	v_fmac_f16_e32 v30, 0x34f2, v54
	v_fma_f16 v23, v38, 0xbb9c, -v31
	v_pack_b32_f16 v19, v19, v21
	v_fma_f16 v21, v45, 0x38b4, -v28
	v_fma_f16 v25, v40, 0xb8b4, -v33
	v_add_f16_e32 v28, v22, v18
	v_add_f16_e32 v38, v50, v29
	v_add_f16_e32 v31, v48, v20
	v_add_f16_e32 v33, v36, v17
	v_add_f16_e32 v40, v51, v30
	v_add_f16_e32 v41, v39, v23
	v_add_f16_e32 v34, v24, v21
	v_add_f16_e32 v42, v32, v25
	v_sub_f16_e32 v18, v22, v18
	v_sub_f16_e32 v20, v48, v20
	;; [unrolled: 1-line block ×8, first 2 shown]
	v_pack_b32_f16 v28, v28, v38
	v_pack_b32_f16 v29, v31, v40
	;; [unrolled: 1-line block ×8, first 2 shown]
	ds_store_2addr_b32 v35, v19, v28 offset1:50
	ds_store_2addr_b32 v35, v29, v30 offset0:100 offset1:150
	ds_store_2addr_b32 v35, v31, v16 offset0:200 offset1:250
	;; [unrolled: 1-line block ×4, first 2 shown]
	s_waitcnt lgkmcnt(0)
	s_barrier
	buffer_gl0_inv
	s_clause 0x1
	global_load_b128 v[16:19], v[26:27], off offset:1960
	global_load_b128 v[20:23], v[10:11], off offset:1960
	ds_load_b32 v28, v0
	ds_load_b32 v29, v15
	ds_load_2addr_b32 v[10:11], v12 offset1:250
	ds_load_2addr_b32 v[12:13], v13 offset0:4 offset1:254
	ds_load_2addr_b32 v[24:25], v14 offset1:250
	ds_load_2addr_b32 v[26:27], v6 offset0:4 offset1:254
	s_waitcnt vmcnt(0) lgkmcnt(0)
	s_barrier
	buffer_gl0_inv
	v_lshrrev_b32_e32 v6, 16, v28
	v_lshrrev_b32_e32 v14, 16, v29
	;; [unrolled: 1-line block ×18, first 2 shown]
	v_mul_f16_e32 v46, v38, v33
	v_mul_f16_e32 v38, v38, v26
	;; [unrolled: 1-line block ×16, first 2 shown]
	v_fma_f16 v26, v16, v26, -v46
	v_fmac_f16_e32 v38, v16, v33
	v_fma_f16 v10, v17, v10, -v47
	v_fmac_f16_e32 v39, v17, v34
	;; [unrolled: 2-line block ×8, first 2 shown]
	v_add_f16_e32 v19, v28, v26
	v_add_f16_e32 v20, v10, v12
	v_sub_f16_e32 v23, v26, v10
	v_sub_f16_e32 v24, v16, v12
	v_add_f16_e32 v25, v26, v16
	v_add_f16_e32 v31, v6, v38
	;; [unrolled: 1-line block ×4, first 2 shown]
	v_sub_f16_e32 v27, v10, v26
	v_sub_f16_e32 v30, v12, v16
	v_sub_f16_e32 v34, v38, v39
	v_sub_f16_e32 v35, v41, v40
	v_add_f16_e32 v46, v29, v17
	v_add_f16_e32 v47, v11, v13
	;; [unrolled: 1-line block ×6, first 2 shown]
	v_sub_f16_e32 v21, v38, v41
	v_sub_f16_e32 v26, v26, v16
	;; [unrolled: 1-line block ×3, first 2 shown]
	v_add_f16_e32 v10, v19, v10
	v_fma_f16 v19, -0.5, v20, v28
	v_add_f16_e32 v20, v23, v24
	v_fmac_f16_e32 v28, -0.5, v25
	v_add_f16_e32 v24, v31, v39
	v_fma_f16 v25, -0.5, v32, v6
	v_sub_f16_e32 v22, v39, v40
	v_sub_f16_e32 v37, v39, v38
	;; [unrolled: 1-line block ×7, first 2 shown]
	v_fmac_f16_e32 v6, -0.5, v36
	v_sub_f16_e32 v49, v43, v44
	v_sub_f16_e32 v50, v17, v11
	;; [unrolled: 1-line block ×5, first 2 shown]
	v_add_f16_e32 v23, v27, v30
	v_add_f16_e32 v27, v34, v35
	;; [unrolled: 1-line block ×3, first 2 shown]
	v_fma_f16 v31, -0.5, v47, v29
	v_fmac_f16_e32 v29, -0.5, v52
	v_add_f16_e32 v35, v55, v43
	v_fma_f16 v36, -0.5, v56, v14
	v_fmac_f16_e32 v14, -0.5, v60
	v_add_f16_e32 v10, v10, v12
	v_fmamk_f16 v12, v21, 0x3b9c, v19
	v_add_f16_e32 v24, v24, v40
	v_fmamk_f16 v40, v26, 0xbb9c, v25
	v_add_f16_e32 v30, v37, v38
	v_add_f16_e32 v38, v42, v61
	v_fmamk_f16 v39, v22, 0xbb9c, v28
	v_fmamk_f16 v42, v33, 0x3b9c, v6
	v_fmac_f16_e32 v28, 0x3b9c, v22
	v_fmac_f16_e32 v6, 0xbb9c, v33
	;; [unrolled: 1-line block ×4, first 2 shown]
	v_sub_f16_e32 v51, v18, v13
	v_sub_f16_e32 v54, v13, v18
	;; [unrolled: 1-line block ×3, first 2 shown]
	v_add_f16_e32 v11, v11, v13
	v_fmamk_f16 v13, v48, 0x3b9c, v31
	v_fmac_f16_e32 v31, 0xbb9c, v48
	v_fmamk_f16 v43, v49, 0xbb9c, v29
	v_fmac_f16_e32 v29, 0x3b9c, v49
	v_add_f16_e32 v35, v35, v44
	v_fmamk_f16 v44, v17, 0xbb9c, v36
	v_fmac_f16_e32 v36, 0x3b9c, v17
	v_fmamk_f16 v46, v57, 0x3b9c, v14
	v_fmac_f16_e32 v14, 0xbb9c, v57
	v_fmac_f16_e32 v12, 0x38b4, v22
	;; [unrolled: 1-line block ×9, first 2 shown]
	v_add_f16_e32 v32, v50, v51
	v_add_f16_e32 v34, v53, v54
	;; [unrolled: 1-line block ×5, first 2 shown]
	v_fmac_f16_e32 v13, 0x38b4, v49
	v_fmac_f16_e32 v31, 0xb8b4, v49
	;; [unrolled: 1-line block ×16, first 2 shown]
	v_add_f16_e32 v11, v11, v18
	v_add_f16_e32 v18, v35, v45
	v_fmac_f16_e32 v13, 0x34f2, v32
	v_fmac_f16_e32 v31, 0x34f2, v32
	;; [unrolled: 1-line block ×8, first 2 shown]
	v_pack_b32_f16 v10, v10, v16
	v_pack_b32_f16 v12, v12, v40
	;; [unrolled: 1-line block ×10, first 2 shown]
	ds_store_b32 v0, v10
	ds_store_b32 v0, v12 offset:2000
	ds_store_b32 v0, v16 offset:4000
	;; [unrolled: 1-line block ×4, first 2 shown]
	ds_store_b32 v15, v11
	ds_store_b32 v15, v13 offset:2000
	ds_store_b32 v15, v18 offset:4000
	;; [unrolled: 1-line block ×4, first 2 shown]
	s_waitcnt lgkmcnt(0)
	s_barrier
	buffer_gl0_inv
	ds_load_b32 v17, v0
	v_sub_nc_u32_e32 v12, 0, v8
                                        ; implicit-def: $vgpr16
                                        ; implicit-def: $vgpr14
                                        ; implicit-def: $vgpr13
                                        ; implicit-def: $vgpr10_vgpr11
	v_cmpx_ne_u32_e32 0, v5
	s_xor_b32 s5, exec_lo, s5
	s_cbranch_execz .LBB0_15
; %bb.14:
	v_mov_b32_e32 v6, v9
	s_delay_alu instid0(VALU_DEP_1) | instskip(NEXT) | instid1(VALU_DEP_1)
	v_lshlrev_b64 v[8:9], 2, v[5:6]
	v_add_co_u32 v8, s0, s1, v8
	s_delay_alu instid0(VALU_DEP_1)
	v_add_co_ci_u32_e64 v9, s0, s4, v9, s0
	global_load_b32 v8, v[8:9], off
	ds_load_b32 v9, v12 offset:10000
	s_waitcnt lgkmcnt(0)
	v_pk_add_f16 v10, v17, v9 neg_lo:[0,1] neg_hi:[0,1]
	v_pk_add_f16 v9, v9, v17
                                        ; implicit-def: $vgpr17
	s_delay_alu instid0(VALU_DEP_1) | instskip(SKIP_1) | instid1(VALU_DEP_2)
	v_bfi_b32 v11, 0xffff, v10, v9
	v_bfi_b32 v9, 0xffff, v9, v10
	v_pk_mul_f16 v11, v11, 0.5 op_sel_hi:[1,0]
	s_delay_alu instid0(VALU_DEP_2) | instskip(SKIP_1) | instid1(VALU_DEP_2)
	v_pk_mul_f16 v13, v9, 0.5 op_sel_hi:[1,0]
	s_waitcnt vmcnt(0)
	v_pk_mul_f16 v10, v8, v11 op_sel:[1,0]
	v_pk_mul_f16 v8, v8, v11 op_sel_hi:[0,1]
	s_delay_alu instid0(VALU_DEP_3) | instskip(NEXT) | instid1(VALU_DEP_3)
	v_lshrrev_b32_e32 v11, 16, v13
	v_pk_fma_f16 v9, v9, 0.5, v10 op_sel_hi:[1,0,1]
	v_lshrrev_b32_e32 v14, 16, v10
	v_sub_f16_e32 v10, v13, v10
	v_lshrrev_b32_e32 v13, 16, v8
	s_delay_alu instid0(VALU_DEP_4) | instskip(SKIP_2) | instid1(VALU_DEP_4)
	v_pk_add_f16 v16, v9, v8 op_sel:[0,1] op_sel_hi:[1,0]
	v_pk_add_f16 v9, v9, v8 op_sel:[0,1] op_sel_hi:[1,0] neg_lo:[0,1] neg_hi:[0,1]
	v_sub_f16_e32 v11, v14, v11
	v_sub_f16_e32 v14, v10, v13
	s_delay_alu instid0(VALU_DEP_3) | instskip(NEXT) | instid1(VALU_DEP_3)
	v_bfi_b32 v16, 0xffff, v16, v9
	v_sub_f16_e32 v13, v11, v8
	v_dual_mov_b32 v11, v6 :: v_dual_mov_b32 v10, v5
.LBB0_15:
	s_and_not1_saveexec_b32 s0, s5
	s_cbranch_execz .LBB0_17
; %bb.16:
	v_dual_mov_b32 v13, 0 :: v_dual_mov_b32 v10, 0
	s_waitcnt lgkmcnt(0)
	v_alignbit_b32 v8, s0, v17, 16
	v_lshrrev_b32_e32 v9, 16, v17
	v_mov_b32_e32 v11, 0
	ds_load_u16 v6, v13 offset:5002
	v_pk_add_f16 v8, v8, v17
	v_sub_f16_e32 v14, v17, v9
	s_delay_alu instid0(VALU_DEP_2)
	v_pack_b32_f16 v16, v8, 0
	s_waitcnt lgkmcnt(0)
	v_xor_b32_e32 v6, 0x8000, v6
	ds_store_b16 v13, v6 offset:5002
.LBB0_17:
	s_or_b32 exec_lo, exec_lo, s0
	v_mov_b32_e32 v8, 0
	s_delay_alu instid0(VALU_DEP_1) | instskip(NEXT) | instid1(VALU_DEP_1)
	v_lshlrev_b64 v[6:7], 2, v[7:8]
	v_add_co_u32 v6, s0, s1, v6
	s_delay_alu instid0(VALU_DEP_1) | instskip(SKIP_2) | instid1(VALU_DEP_1)
	v_add_co_ci_u32_e64 v7, s0, s4, v7, s0
	global_load_b32 v9, v[6:7], off
	v_lshlrev_b64 v[6:7], 2, v[10:11]
	v_add_co_u32 v6, s0, s1, v6
	s_delay_alu instid0(VALU_DEP_1)
	v_add_co_ci_u32_e64 v7, s0, s4, v7, s0
	s_clause 0x2
	global_load_b32 v10, v[6:7], off offset:2000
	global_load_b32 v11, v[6:7], off offset:3000
	;; [unrolled: 1-line block ×3, first 2 shown]
	ds_store_b16 v12, v13 offset:10002
	ds_store_b32 v0, v16
	ds_store_b16 v12, v14 offset:10000
	ds_load_b32 v7, v15
	ds_load_b32 v13, v12 offset:9000
	s_waitcnt lgkmcnt(0)
	v_pk_add_f16 v14, v7, v13 neg_lo:[0,1] neg_hi:[0,1]
	v_pk_add_f16 v7, v7, v13
	s_delay_alu instid0(VALU_DEP_1) | instskip(SKIP_1) | instid1(VALU_DEP_2)
	v_bfi_b32 v13, 0xffff, v14, v7
	v_bfi_b32 v7, 0xffff, v7, v14
	v_pk_mul_f16 v13, v13, 0.5 op_sel_hi:[1,0]
	s_delay_alu instid0(VALU_DEP_2) | instskip(SKIP_1) | instid1(VALU_DEP_1)
	v_pk_mul_f16 v7, v7, 0.5 op_sel_hi:[1,0]
	s_waitcnt vmcnt(3)
	v_pk_fma_f16 v14, v9, v13, v7 op_sel:[1,0,0]
	v_pk_mul_f16 v16, v9, v13 op_sel_hi:[0,1]
	v_pk_fma_f16 v17, v9, v13, v7 op_sel:[1,0,0] neg_lo:[1,0,0] neg_hi:[1,0,0]
	v_pk_fma_f16 v7, v9, v13, v7 op_sel:[1,0,0] neg_lo:[0,0,1] neg_hi:[0,0,1]
	s_delay_alu instid0(VALU_DEP_3) | instskip(SKIP_1) | instid1(VALU_DEP_4)
	v_pk_add_f16 v9, v14, v16 op_sel:[0,1] op_sel_hi:[1,0]
	v_pk_add_f16 v13, v14, v16 op_sel:[0,1] op_sel_hi:[1,0] neg_lo:[0,1] neg_hi:[0,1]
	v_pk_add_f16 v14, v17, v16 op_sel:[0,1] op_sel_hi:[1,0] neg_lo:[0,1] neg_hi:[0,1]
	s_delay_alu instid0(VALU_DEP_4) | instskip(NEXT) | instid1(VALU_DEP_3)
	v_pk_add_f16 v7, v7, v16 op_sel:[0,1] op_sel_hi:[1,0] neg_lo:[0,1] neg_hi:[0,1]
	v_bfi_b32 v9, 0xffff, v9, v13
	s_delay_alu instid0(VALU_DEP_2)
	v_bfi_b32 v7, 0xffff, v14, v7
	ds_store_b32 v15, v9
	ds_store_b32 v12, v7 offset:9000
	ds_load_b32 v7, v0 offset:2000
	ds_load_b32 v9, v12 offset:8000
	s_waitcnt lgkmcnt(0)
	v_pk_add_f16 v13, v7, v9 neg_lo:[0,1] neg_hi:[0,1]
	v_pk_add_f16 v7, v7, v9
	s_delay_alu instid0(VALU_DEP_1) | instskip(SKIP_1) | instid1(VALU_DEP_2)
	v_bfi_b32 v9, 0xffff, v13, v7
	v_bfi_b32 v7, 0xffff, v7, v13
	v_pk_mul_f16 v9, v9, 0.5 op_sel_hi:[1,0]
	s_delay_alu instid0(VALU_DEP_2) | instskip(SKIP_1) | instid1(VALU_DEP_2)
	v_pk_mul_f16 v13, v7, 0.5 op_sel_hi:[1,0]
	s_waitcnt vmcnt(2)
	v_pk_mul_f16 v14, v10, v9 op_sel:[1,0]
	v_pk_mul_f16 v9, v10, v9 op_sel_hi:[0,1]
	s_delay_alu instid0(VALU_DEP_3) | instskip(NEXT) | instid1(VALU_DEP_3)
	v_lshrrev_b32_e32 v10, 16, v13
	v_lshrrev_b32_e32 v15, 16, v14
	v_pk_fma_f16 v7, v7, 0.5, v14 op_sel_hi:[1,0,1]
	v_sub_f16_e32 v13, v13, v14
	s_delay_alu instid0(VALU_DEP_3) | instskip(NEXT) | instid1(VALU_DEP_3)
	v_sub_f16_e32 v10, v15, v10
	v_pk_add_f16 v14, v7, v9 op_sel:[0,1] op_sel_hi:[1,0]
	v_pk_add_f16 v7, v7, v9 op_sel:[0,1] op_sel_hi:[1,0] neg_lo:[0,1] neg_hi:[0,1]
	v_lshrrev_b32_e32 v15, 16, v9
	s_delay_alu instid0(VALU_DEP_4) | instskip(NEXT) | instid1(VALU_DEP_3)
	v_sub_f16_e32 v9, v10, v9
	v_bfi_b32 v7, 0xffff, v14, v7
	s_delay_alu instid0(VALU_DEP_3)
	v_sub_f16_e32 v10, v13, v15
	ds_store_b16 v12, v9 offset:8002
	ds_store_b32 v0, v7 offset:2000
	ds_store_b16 v12, v10 offset:8000
	ds_load_b32 v7, v0 offset:3000
	ds_load_b32 v9, v12 offset:7000
	s_waitcnt lgkmcnt(0)
	v_pk_add_f16 v10, v7, v9 neg_lo:[0,1] neg_hi:[0,1]
	v_pk_add_f16 v7, v7, v9
	s_delay_alu instid0(VALU_DEP_1) | instskip(SKIP_1) | instid1(VALU_DEP_2)
	v_bfi_b32 v9, 0xffff, v10, v7
	v_bfi_b32 v7, 0xffff, v7, v10
	v_pk_mul_f16 v9, v9, 0.5 op_sel_hi:[1,0]
	s_delay_alu instid0(VALU_DEP_2) | instskip(SKIP_1) | instid1(VALU_DEP_2)
	v_pk_mul_f16 v10, v7, 0.5 op_sel_hi:[1,0]
	s_waitcnt vmcnt(1)
	v_pk_mul_f16 v13, v11, v9 op_sel:[1,0]
	v_pk_mul_f16 v9, v11, v9 op_sel_hi:[0,1]
	s_delay_alu instid0(VALU_DEP_3) | instskip(NEXT) | instid1(VALU_DEP_3)
	v_lshrrev_b32_e32 v11, 16, v10
	v_lshrrev_b32_e32 v14, 16, v13
	v_pk_fma_f16 v7, v7, 0.5, v13 op_sel_hi:[1,0,1]
	v_sub_f16_e32 v10, v10, v13
	s_delay_alu instid0(VALU_DEP_3) | instskip(NEXT) | instid1(VALU_DEP_3)
	v_sub_f16_e32 v11, v14, v11
	v_pk_add_f16 v13, v7, v9 op_sel:[0,1] op_sel_hi:[1,0]
	v_pk_add_f16 v7, v7, v9 op_sel:[0,1] op_sel_hi:[1,0] neg_lo:[0,1] neg_hi:[0,1]
	v_lshrrev_b32_e32 v14, 16, v9
	s_delay_alu instid0(VALU_DEP_4) | instskip(NEXT) | instid1(VALU_DEP_3)
	v_sub_f16_e32 v9, v11, v9
	v_bfi_b32 v7, 0xffff, v13, v7
	s_delay_alu instid0(VALU_DEP_3)
	v_sub_f16_e32 v10, v10, v14
	ds_store_b16 v12, v9 offset:7002
	ds_store_b32 v0, v7 offset:3000
	ds_store_b16 v12, v10 offset:7000
	ds_load_b32 v7, v0 offset:4000
	ds_load_b32 v9, v12 offset:6000
	s_waitcnt lgkmcnt(0)
	v_pk_add_f16 v10, v7, v9 neg_lo:[0,1] neg_hi:[0,1]
	v_pk_add_f16 v7, v7, v9
	s_delay_alu instid0(VALU_DEP_1) | instskip(SKIP_1) | instid1(VALU_DEP_2)
	v_bfi_b32 v9, 0xffff, v10, v7
	v_bfi_b32 v7, 0xffff, v7, v10
	v_pk_mul_f16 v9, v9, 0.5 op_sel_hi:[1,0]
	s_delay_alu instid0(VALU_DEP_2) | instskip(SKIP_1) | instid1(VALU_DEP_2)
	v_pk_mul_f16 v7, v7, 0.5 op_sel_hi:[1,0]
	s_waitcnt vmcnt(0)
	v_pk_mul_f16 v11, v6, v9 op_sel_hi:[0,1]
	s_delay_alu instid0(VALU_DEP_2) | instskip(SKIP_2) | instid1(VALU_DEP_3)
	v_pk_fma_f16 v10, v6, v9, v7 op_sel:[1,0,0]
	v_pk_fma_f16 v13, v6, v9, v7 op_sel:[1,0,0] neg_lo:[1,0,0] neg_hi:[1,0,0]
	v_pk_fma_f16 v6, v6, v9, v7 op_sel:[1,0,0] neg_lo:[0,0,1] neg_hi:[0,0,1]
	v_pk_add_f16 v7, v10, v11 op_sel:[0,1] op_sel_hi:[1,0]
	v_pk_add_f16 v9, v10, v11 op_sel:[0,1] op_sel_hi:[1,0] neg_lo:[0,1] neg_hi:[0,1]
	s_delay_alu instid0(VALU_DEP_4) | instskip(NEXT) | instid1(VALU_DEP_4)
	v_pk_add_f16 v10, v13, v11 op_sel:[0,1] op_sel_hi:[1,0] neg_lo:[0,1] neg_hi:[0,1]
	v_pk_add_f16 v6, v6, v11 op_sel:[0,1] op_sel_hi:[1,0] neg_lo:[0,1] neg_hi:[0,1]
	s_delay_alu instid0(VALU_DEP_3) | instskip(NEXT) | instid1(VALU_DEP_2)
	v_bfi_b32 v7, 0xffff, v7, v9
	v_bfi_b32 v6, 0xffff, v10, v6
	ds_store_b32 v0, v7 offset:4000
	ds_store_b32 v12, v6 offset:6000
	s_waitcnt lgkmcnt(0)
	s_barrier
	buffer_gl0_inv
	s_and_saveexec_b32 s0, vcc_lo
	s_cbranch_execz .LBB0_20
; %bb.18:
	v_mul_lo_u32 v0, s3, v3
	v_mul_lo_u32 v4, s2, v4
	v_mad_u64_u32 v[9:10], null, s2, v3, 0
	v_dual_mov_b32 v6, v8 :: v_dual_add_nc_u32 v7, 0xfa, v5
	v_lshl_add_u32 v31, v5, 2, 0
	s_delay_alu instid0(VALU_DEP_2) | instskip(NEXT) | instid1(VALU_DEP_4)
	v_lshlrev_b64 v[11:12], 2, v[5:6]
	v_add3_u32 v10, v10, v4, v0
	s_delay_alu instid0(VALU_DEP_4)
	v_lshlrev_b64 v[13:14], 2, v[7:8]
	v_add_nc_u32_e32 v7, 0x1f4, v5
	v_lshlrev_b64 v[0:1], 2, v[1:2]
	v_add_nc_u32_e32 v4, 0x7c0, v31
	v_lshlrev_b64 v[9:10], 2, v[9:10]
	ds_load_2addr_b32 v[2:3], v31 offset1:250
	v_add_co_u32 v6, vcc_lo, s6, v9
	v_add_co_ci_u32_e32 v15, vcc_lo, s7, v10, vcc_lo
	v_lshlrev_b64 v[9:10], 2, v[7:8]
	v_add_nc_u32_e32 v7, 0x2ee, v5
	s_delay_alu instid0(VALU_DEP_4) | instskip(NEXT) | instid1(VALU_DEP_4)
	v_add_co_u32 v0, vcc_lo, v6, v0
	v_add_co_ci_u32_e32 v1, vcc_lo, v15, v1, vcc_lo
	s_delay_alu instid0(VALU_DEP_3) | instskip(SKIP_1) | instid1(VALU_DEP_4)
	v_lshlrev_b64 v[17:18], 2, v[7:8]
	v_add_nc_u32_e32 v7, 0x3e8, v5
	v_add_co_u32 v11, vcc_lo, v0, v11
	s_delay_alu instid0(VALU_DEP_4) | instskip(NEXT) | instid1(VALU_DEP_3)
	v_add_co_ci_u32_e32 v12, vcc_lo, v1, v12, vcc_lo
	v_lshlrev_b64 v[19:20], 2, v[7:8]
	v_add_nc_u32_e32 v7, 0x4e2, v5
	v_add_co_u32 v13, vcc_lo, v0, v13
	v_add_co_ci_u32_e32 v14, vcc_lo, v1, v14, vcc_lo
	s_delay_alu instid0(VALU_DEP_3)
	v_lshlrev_b64 v[23:24], 2, v[7:8]
	v_add_nc_u32_e32 v7, 0x5dc, v5
	v_add_co_u32 v9, vcc_lo, v0, v9
	ds_load_2addr_b32 v[15:16], v4 offset0:4 offset1:254
	v_add_co_ci_u32_e32 v10, vcc_lo, v1, v10, vcc_lo
	v_lshlrev_b64 v[25:26], 2, v[7:8]
	v_add_nc_u32_e32 v7, 0x6d6, v5
	v_add_nc_u32_e32 v4, 0xfa0, v31
	v_add_co_u32 v17, vcc_lo, v0, v17
	v_add_co_ci_u32_e32 v18, vcc_lo, v1, v18, vcc_lo
	s_delay_alu instid0(VALU_DEP_4)
	v_lshlrev_b64 v[29:30], 2, v[7:8]
	v_add_nc_u32_e32 v7, 0x7d0, v5
	v_add_co_u32 v19, vcc_lo, v0, v19
	ds_load_2addr_b32 v[21:22], v4 offset1:250
	v_add_nc_u32_e32 v4, 0x1760, v31
	v_add_co_ci_u32_e32 v20, vcc_lo, v1, v20, vcc_lo
	v_add_co_u32 v23, vcc_lo, v0, v23
	v_lshlrev_b64 v[33:34], 2, v[7:8]
	v_add_nc_u32_e32 v7, 0x8ca, v5
	v_add_co_ci_u32_e32 v24, vcc_lo, v1, v24, vcc_lo
	ds_load_2addr_b32 v[27:28], v4 offset0:4 offset1:254
	v_add_nc_u32_e32 v4, 0x1f40, v31
	v_add_co_u32 v25, vcc_lo, v0, v25
	v_add_co_ci_u32_e32 v26, vcc_lo, v1, v26, vcc_lo
	v_add_co_u32 v29, vcc_lo, v0, v29
	v_lshlrev_b64 v[6:7], 2, v[7:8]
	ds_load_2addr_b32 v[31:32], v4 offset1:250
	v_add_co_ci_u32_e32 v30, vcc_lo, v1, v30, vcc_lo
	v_add_co_u32 v33, vcc_lo, v0, v33
	v_add_co_ci_u32_e32 v34, vcc_lo, v1, v34, vcc_lo
	v_add_co_u32 v6, vcc_lo, v0, v6
	v_add_co_ci_u32_e32 v7, vcc_lo, v1, v7, vcc_lo
	v_cmp_eq_u32_e32 vcc_lo, 0xf9, v5
	s_waitcnt lgkmcnt(4)
	s_clause 0x1
	global_store_b32 v[11:12], v2, off
	global_store_b32 v[13:14], v3, off
	s_waitcnt lgkmcnt(3)
	s_clause 0x1
	global_store_b32 v[9:10], v15, off
	global_store_b32 v[17:18], v16, off
	s_waitcnt lgkmcnt(2)
	s_clause 0x1
	global_store_b32 v[19:20], v21, off
	global_store_b32 v[23:24], v22, off
	s_waitcnt lgkmcnt(1)
	s_clause 0x1
	global_store_b32 v[25:26], v27, off
	global_store_b32 v[29:30], v28, off
	s_waitcnt lgkmcnt(0)
	s_clause 0x1
	global_store_b32 v[33:34], v31, off
	global_store_b32 v[6:7], v32, off
	s_and_b32 exec_lo, exec_lo, vcc_lo
	s_cbranch_execz .LBB0_20
; %bb.19:
	v_mov_b32_e32 v2, 0
	v_add_co_u32 v0, vcc_lo, 0x2000, v0
	v_add_co_ci_u32_e32 v1, vcc_lo, 0, v1, vcc_lo
	ds_load_b32 v2, v2 offset:10000
	s_waitcnt lgkmcnt(0)
	global_store_b32 v[0:1], v2, off offset:1808
.LBB0_20:
	s_nop 0
	s_sendmsg sendmsg(MSG_DEALLOC_VGPRS)
	s_endpgm
	.section	.rodata,"a",@progbits
	.p2align	6, 0x0
	.amdhsa_kernel fft_rtc_fwd_len2500_factors_10_5_10_5_wgs_250_tpt_250_halfLds_half_op_CI_CI_unitstride_sbrr_R2C_dirReg
		.amdhsa_group_segment_fixed_size 0
		.amdhsa_private_segment_fixed_size 0
		.amdhsa_kernarg_size 104
		.amdhsa_user_sgpr_count 15
		.amdhsa_user_sgpr_dispatch_ptr 0
		.amdhsa_user_sgpr_queue_ptr 0
		.amdhsa_user_sgpr_kernarg_segment_ptr 1
		.amdhsa_user_sgpr_dispatch_id 0
		.amdhsa_user_sgpr_private_segment_size 0
		.amdhsa_wavefront_size32 1
		.amdhsa_uses_dynamic_stack 0
		.amdhsa_enable_private_segment 0
		.amdhsa_system_sgpr_workgroup_id_x 1
		.amdhsa_system_sgpr_workgroup_id_y 0
		.amdhsa_system_sgpr_workgroup_id_z 0
		.amdhsa_system_sgpr_workgroup_info 0
		.amdhsa_system_vgpr_workitem_id 0
		.amdhsa_next_free_vgpr 72
		.amdhsa_next_free_sgpr 27
		.amdhsa_reserve_vcc 1
		.amdhsa_float_round_mode_32 0
		.amdhsa_float_round_mode_16_64 0
		.amdhsa_float_denorm_mode_32 3
		.amdhsa_float_denorm_mode_16_64 3
		.amdhsa_dx10_clamp 1
		.amdhsa_ieee_mode 1
		.amdhsa_fp16_overflow 0
		.amdhsa_workgroup_processor_mode 1
		.amdhsa_memory_ordered 1
		.amdhsa_forward_progress 0
		.amdhsa_shared_vgpr_count 0
		.amdhsa_exception_fp_ieee_invalid_op 0
		.amdhsa_exception_fp_denorm_src 0
		.amdhsa_exception_fp_ieee_div_zero 0
		.amdhsa_exception_fp_ieee_overflow 0
		.amdhsa_exception_fp_ieee_underflow 0
		.amdhsa_exception_fp_ieee_inexact 0
		.amdhsa_exception_int_div_zero 0
	.end_amdhsa_kernel
	.text
.Lfunc_end0:
	.size	fft_rtc_fwd_len2500_factors_10_5_10_5_wgs_250_tpt_250_halfLds_half_op_CI_CI_unitstride_sbrr_R2C_dirReg, .Lfunc_end0-fft_rtc_fwd_len2500_factors_10_5_10_5_wgs_250_tpt_250_halfLds_half_op_CI_CI_unitstride_sbrr_R2C_dirReg
                                        ; -- End function
	.section	.AMDGPU.csdata,"",@progbits
; Kernel info:
; codeLenInByte = 8892
; NumSgprs: 29
; NumVgprs: 72
; ScratchSize: 0
; MemoryBound: 0
; FloatMode: 240
; IeeeMode: 1
; LDSByteSize: 0 bytes/workgroup (compile time only)
; SGPRBlocks: 3
; VGPRBlocks: 8
; NumSGPRsForWavesPerEU: 29
; NumVGPRsForWavesPerEU: 72
; Occupancy: 16
; WaveLimiterHint : 1
; COMPUTE_PGM_RSRC2:SCRATCH_EN: 0
; COMPUTE_PGM_RSRC2:USER_SGPR: 15
; COMPUTE_PGM_RSRC2:TRAP_HANDLER: 0
; COMPUTE_PGM_RSRC2:TGID_X_EN: 1
; COMPUTE_PGM_RSRC2:TGID_Y_EN: 0
; COMPUTE_PGM_RSRC2:TGID_Z_EN: 0
; COMPUTE_PGM_RSRC2:TIDIG_COMP_CNT: 0
	.text
	.p2alignl 7, 3214868480
	.fill 96, 4, 3214868480
	.type	__hip_cuid_52a4a8fb382448a8,@object ; @__hip_cuid_52a4a8fb382448a8
	.section	.bss,"aw",@nobits
	.globl	__hip_cuid_52a4a8fb382448a8
__hip_cuid_52a4a8fb382448a8:
	.byte	0                               ; 0x0
	.size	__hip_cuid_52a4a8fb382448a8, 1

	.ident	"AMD clang version 19.0.0git (https://github.com/RadeonOpenCompute/llvm-project roc-6.4.0 25133 c7fe45cf4b819c5991fe208aaa96edf142730f1d)"
	.section	".note.GNU-stack","",@progbits
	.addrsig
	.addrsig_sym __hip_cuid_52a4a8fb382448a8
	.amdgpu_metadata
---
amdhsa.kernels:
  - .args:
      - .actual_access:  read_only
        .address_space:  global
        .offset:         0
        .size:           8
        .value_kind:     global_buffer
      - .offset:         8
        .size:           8
        .value_kind:     by_value
      - .actual_access:  read_only
        .address_space:  global
        .offset:         16
        .size:           8
        .value_kind:     global_buffer
      - .actual_access:  read_only
        .address_space:  global
        .offset:         24
        .size:           8
        .value_kind:     global_buffer
      - .actual_access:  read_only
        .address_space:  global
        .offset:         32
        .size:           8
        .value_kind:     global_buffer
      - .offset:         40
        .size:           8
        .value_kind:     by_value
      - .actual_access:  read_only
        .address_space:  global
        .offset:         48
        .size:           8
        .value_kind:     global_buffer
      - .actual_access:  read_only
        .address_space:  global
        .offset:         56
        .size:           8
        .value_kind:     global_buffer
      - .offset:         64
        .size:           4
        .value_kind:     by_value
      - .actual_access:  read_only
        .address_space:  global
        .offset:         72
        .size:           8
        .value_kind:     global_buffer
      - .actual_access:  read_only
        .address_space:  global
        .offset:         80
        .size:           8
        .value_kind:     global_buffer
      - .actual_access:  read_only
        .address_space:  global
        .offset:         88
        .size:           8
        .value_kind:     global_buffer
      - .actual_access:  write_only
        .address_space:  global
        .offset:         96
        .size:           8
        .value_kind:     global_buffer
    .group_segment_fixed_size: 0
    .kernarg_segment_align: 8
    .kernarg_segment_size: 104
    .language:       OpenCL C
    .language_version:
      - 2
      - 0
    .max_flat_workgroup_size: 250
    .name:           fft_rtc_fwd_len2500_factors_10_5_10_5_wgs_250_tpt_250_halfLds_half_op_CI_CI_unitstride_sbrr_R2C_dirReg
    .private_segment_fixed_size: 0
    .sgpr_count:     29
    .sgpr_spill_count: 0
    .symbol:         fft_rtc_fwd_len2500_factors_10_5_10_5_wgs_250_tpt_250_halfLds_half_op_CI_CI_unitstride_sbrr_R2C_dirReg.kd
    .uniform_work_group_size: 1
    .uses_dynamic_stack: false
    .vgpr_count:     72
    .vgpr_spill_count: 0
    .wavefront_size: 32
    .workgroup_processor_mode: 1
amdhsa.target:   amdgcn-amd-amdhsa--gfx1100
amdhsa.version:
  - 1
  - 2
...

	.end_amdgpu_metadata
